;; amdgpu-corpus repo=ROCm/rocFFT kind=compiled arch=gfx1201 opt=O3
	.text
	.amdgcn_target "amdgcn-amd-amdhsa--gfx1201"
	.amdhsa_code_object_version 6
	.protected	fft_rtc_back_len432_factors_3_16_3_3_wgs_54_tpt_27_halfLds_half_op_CI_CI_unitstride_sbrr_dirReg ; -- Begin function fft_rtc_back_len432_factors_3_16_3_3_wgs_54_tpt_27_halfLds_half_op_CI_CI_unitstride_sbrr_dirReg
	.globl	fft_rtc_back_len432_factors_3_16_3_3_wgs_54_tpt_27_halfLds_half_op_CI_CI_unitstride_sbrr_dirReg
	.p2align	8
	.type	fft_rtc_back_len432_factors_3_16_3_3_wgs_54_tpt_27_halfLds_half_op_CI_CI_unitstride_sbrr_dirReg,@function
fft_rtc_back_len432_factors_3_16_3_3_wgs_54_tpt_27_halfLds_half_op_CI_CI_unitstride_sbrr_dirReg: ; @fft_rtc_back_len432_factors_3_16_3_3_wgs_54_tpt_27_halfLds_half_op_CI_CI_unitstride_sbrr_dirReg
; %bb.0:
	s_clause 0x2
	s_load_b128 s[4:7], s[0:1], 0x0
	s_load_b128 s[8:11], s[0:1], 0x58
	;; [unrolled: 1-line block ×3, first 2 shown]
	v_mul_u32_u24_e32 v1, 0x97c, v0
	v_mov_b32_e32 v8, 0
	s_delay_alu instid0(VALU_DEP_2) | instskip(SKIP_1) | instid1(VALU_DEP_3)
	v_lshrrev_b32_e32 v3, 16, v1
	v_mov_b32_e32 v1, 0
	v_dual_mov_b32 v11, v8 :: v_dual_mov_b32 v2, 0
	s_delay_alu instid0(VALU_DEP_3) | instskip(SKIP_2) | instid1(VALU_DEP_1)
	v_lshl_add_u32 v10, ttmp9, 1, v3
	s_wait_kmcnt 0x0
	v_cmp_lt_u64_e64 s2, s[6:7], 2
	s_and_b32 vcc_lo, exec_lo, s2
	s_cbranch_vccnz .LBB0_8
; %bb.1:
	s_load_b64 s[2:3], s[0:1], 0x10
	v_mov_b32_e32 v1, 0
	v_mov_b32_e32 v2, 0
	s_add_nc_u64 s[16:17], s[14:15], 8
	s_add_nc_u64 s[18:19], s[12:13], 8
	s_mov_b64 s[20:21], 1
	s_delay_alu instid0(VALU_DEP_1)
	v_dual_mov_b32 v5, v2 :: v_dual_mov_b32 v4, v1
	s_wait_kmcnt 0x0
	s_add_nc_u64 s[22:23], s[2:3], 8
	s_mov_b32 s3, 0
.LBB0_2:                                ; =>This Inner Loop Header: Depth=1
	s_load_b64 s[24:25], s[22:23], 0x0
                                        ; implicit-def: $vgpr6_vgpr7
	s_mov_b32 s2, exec_lo
	s_wait_kmcnt 0x0
	v_or_b32_e32 v9, s25, v11
	s_delay_alu instid0(VALU_DEP_1)
	v_cmpx_ne_u64_e32 0, v[8:9]
	s_wait_alu 0xfffe
	s_xor_b32 s26, exec_lo, s2
	s_cbranch_execz .LBB0_4
; %bb.3:                                ;   in Loop: Header=BB0_2 Depth=1
	s_cvt_f32_u32 s2, s24
	s_cvt_f32_u32 s27, s25
	s_sub_nc_u64 s[30:31], 0, s[24:25]
	s_wait_alu 0xfffe
	s_delay_alu instid0(SALU_CYCLE_1) | instskip(SKIP_1) | instid1(SALU_CYCLE_2)
	s_fmamk_f32 s2, s27, 0x4f800000, s2
	s_wait_alu 0xfffe
	v_s_rcp_f32 s2, s2
	s_delay_alu instid0(TRANS32_DEP_1) | instskip(SKIP_1) | instid1(SALU_CYCLE_2)
	s_mul_f32 s2, s2, 0x5f7ffffc
	s_wait_alu 0xfffe
	s_mul_f32 s27, s2, 0x2f800000
	s_wait_alu 0xfffe
	s_delay_alu instid0(SALU_CYCLE_2) | instskip(SKIP_1) | instid1(SALU_CYCLE_2)
	s_trunc_f32 s27, s27
	s_wait_alu 0xfffe
	s_fmamk_f32 s2, s27, 0xcf800000, s2
	s_cvt_u32_f32 s29, s27
	s_wait_alu 0xfffe
	s_delay_alu instid0(SALU_CYCLE_1) | instskip(SKIP_1) | instid1(SALU_CYCLE_2)
	s_cvt_u32_f32 s28, s2
	s_wait_alu 0xfffe
	s_mul_u64 s[34:35], s[30:31], s[28:29]
	s_wait_alu 0xfffe
	s_mul_hi_u32 s37, s28, s35
	s_mul_i32 s36, s28, s35
	s_mul_hi_u32 s2, s28, s34
	s_mul_i32 s33, s29, s34
	s_wait_alu 0xfffe
	s_add_nc_u64 s[36:37], s[2:3], s[36:37]
	s_mul_hi_u32 s27, s29, s34
	s_mul_hi_u32 s38, s29, s35
	s_add_co_u32 s2, s36, s33
	s_wait_alu 0xfffe
	s_add_co_ci_u32 s2, s37, s27
	s_mul_i32 s34, s29, s35
	s_add_co_ci_u32 s35, s38, 0
	s_wait_alu 0xfffe
	s_add_nc_u64 s[34:35], s[2:3], s[34:35]
	s_wait_alu 0xfffe
	v_add_co_u32 v6, s2, s28, s34
	s_delay_alu instid0(VALU_DEP_1) | instskip(SKIP_1) | instid1(VALU_DEP_1)
	s_cmp_lg_u32 s2, 0
	s_add_co_ci_u32 s29, s29, s35
	v_readfirstlane_b32 s28, v6
	s_wait_alu 0xfffe
	s_delay_alu instid0(VALU_DEP_1)
	s_mul_u64 s[30:31], s[30:31], s[28:29]
	s_wait_alu 0xfffe
	s_mul_hi_u32 s35, s28, s31
	s_mul_i32 s34, s28, s31
	s_mul_hi_u32 s2, s28, s30
	s_mul_i32 s33, s29, s30
	s_wait_alu 0xfffe
	s_add_nc_u64 s[34:35], s[2:3], s[34:35]
	s_mul_hi_u32 s27, s29, s30
	s_mul_hi_u32 s28, s29, s31
	s_wait_alu 0xfffe
	s_add_co_u32 s2, s34, s33
	s_add_co_ci_u32 s2, s35, s27
	s_mul_i32 s30, s29, s31
	s_add_co_ci_u32 s31, s28, 0
	s_wait_alu 0xfffe
	s_add_nc_u64 s[30:31], s[2:3], s[30:31]
	s_wait_alu 0xfffe
	v_add_co_u32 v9, s2, v6, s30
	s_delay_alu instid0(VALU_DEP_1) | instskip(SKIP_1) | instid1(VALU_DEP_1)
	s_cmp_lg_u32 s2, 0
	s_add_co_ci_u32 s2, s29, s31
	v_mul_hi_u32 v16, v10, v9
	s_wait_alu 0xfffe
	v_mad_co_u64_u32 v[6:7], null, v10, s2, 0
	v_mad_co_u64_u32 v[12:13], null, v11, v9, 0
	;; [unrolled: 1-line block ×3, first 2 shown]
	s_delay_alu instid0(VALU_DEP_3) | instskip(SKIP_1) | instid1(VALU_DEP_4)
	v_add_co_u32 v6, vcc_lo, v16, v6
	s_wait_alu 0xfffd
	v_add_co_ci_u32_e32 v7, vcc_lo, 0, v7, vcc_lo
	s_delay_alu instid0(VALU_DEP_2) | instskip(SKIP_1) | instid1(VALU_DEP_2)
	v_add_co_u32 v6, vcc_lo, v6, v12
	s_wait_alu 0xfffd
	v_add_co_ci_u32_e32 v6, vcc_lo, v7, v13, vcc_lo
	s_wait_alu 0xfffd
	v_add_co_ci_u32_e32 v7, vcc_lo, 0, v15, vcc_lo
	s_delay_alu instid0(VALU_DEP_2) | instskip(SKIP_1) | instid1(VALU_DEP_2)
	v_add_co_u32 v9, vcc_lo, v6, v14
	s_wait_alu 0xfffd
	v_add_co_ci_u32_e32 v12, vcc_lo, 0, v7, vcc_lo
	s_delay_alu instid0(VALU_DEP_2) | instskip(SKIP_1) | instid1(VALU_DEP_3)
	v_mul_lo_u32 v13, s25, v9
	v_mad_co_u64_u32 v[6:7], null, s24, v9, 0
	v_mul_lo_u32 v14, s24, v12
	s_delay_alu instid0(VALU_DEP_2) | instskip(NEXT) | instid1(VALU_DEP_2)
	v_sub_co_u32 v6, vcc_lo, v10, v6
	v_add3_u32 v7, v7, v14, v13
	s_delay_alu instid0(VALU_DEP_1) | instskip(SKIP_1) | instid1(VALU_DEP_1)
	v_sub_nc_u32_e32 v13, v11, v7
	s_wait_alu 0xfffd
	v_subrev_co_ci_u32_e64 v13, s2, s25, v13, vcc_lo
	v_add_co_u32 v14, s2, v9, 2
	s_wait_alu 0xf1ff
	v_add_co_ci_u32_e64 v15, s2, 0, v12, s2
	v_sub_co_u32 v16, s2, v6, s24
	v_sub_co_ci_u32_e32 v7, vcc_lo, v11, v7, vcc_lo
	s_wait_alu 0xf1ff
	v_subrev_co_ci_u32_e64 v13, s2, 0, v13, s2
	s_delay_alu instid0(VALU_DEP_3) | instskip(NEXT) | instid1(VALU_DEP_3)
	v_cmp_le_u32_e32 vcc_lo, s24, v16
	v_cmp_eq_u32_e64 s2, s25, v7
	s_wait_alu 0xfffd
	v_cndmask_b32_e64 v16, 0, -1, vcc_lo
	v_cmp_le_u32_e32 vcc_lo, s25, v13
	s_wait_alu 0xfffd
	v_cndmask_b32_e64 v17, 0, -1, vcc_lo
	v_cmp_le_u32_e32 vcc_lo, s24, v6
	;; [unrolled: 3-line block ×3, first 2 shown]
	s_wait_alu 0xfffd
	v_cndmask_b32_e64 v18, 0, -1, vcc_lo
	v_cmp_eq_u32_e32 vcc_lo, s25, v13
	s_wait_alu 0xf1ff
	s_delay_alu instid0(VALU_DEP_2)
	v_cndmask_b32_e64 v6, v18, v6, s2
	s_wait_alu 0xfffd
	v_cndmask_b32_e32 v13, v17, v16, vcc_lo
	v_add_co_u32 v16, vcc_lo, v9, 1
	s_wait_alu 0xfffd
	v_add_co_ci_u32_e32 v17, vcc_lo, 0, v12, vcc_lo
	s_delay_alu instid0(VALU_DEP_3) | instskip(SKIP_1) | instid1(VALU_DEP_2)
	v_cmp_ne_u32_e32 vcc_lo, 0, v13
	s_wait_alu 0xfffd
	v_cndmask_b32_e32 v7, v17, v15, vcc_lo
	v_cndmask_b32_e32 v13, v16, v14, vcc_lo
	v_cmp_ne_u32_e32 vcc_lo, 0, v6
	s_wait_alu 0xfffd
	s_delay_alu instid0(VALU_DEP_2)
	v_dual_cndmask_b32 v7, v12, v7 :: v_dual_cndmask_b32 v6, v9, v13
.LBB0_4:                                ;   in Loop: Header=BB0_2 Depth=1
	s_wait_alu 0xfffe
	s_and_not1_saveexec_b32 s2, s26
	s_cbranch_execz .LBB0_6
; %bb.5:                                ;   in Loop: Header=BB0_2 Depth=1
	v_cvt_f32_u32_e32 v6, s24
	s_sub_co_i32 s26, 0, s24
	s_delay_alu instid0(VALU_DEP_1) | instskip(NEXT) | instid1(TRANS32_DEP_1)
	v_rcp_iflag_f32_e32 v6, v6
	v_mul_f32_e32 v6, 0x4f7ffffe, v6
	s_delay_alu instid0(VALU_DEP_1) | instskip(SKIP_1) | instid1(VALU_DEP_1)
	v_cvt_u32_f32_e32 v6, v6
	s_wait_alu 0xfffe
	v_mul_lo_u32 v7, s26, v6
	s_delay_alu instid0(VALU_DEP_1) | instskip(NEXT) | instid1(VALU_DEP_1)
	v_mul_hi_u32 v7, v6, v7
	v_add_nc_u32_e32 v6, v6, v7
	s_delay_alu instid0(VALU_DEP_1) | instskip(NEXT) | instid1(VALU_DEP_1)
	v_mul_hi_u32 v6, v10, v6
	v_mul_lo_u32 v7, v6, s24
	v_add_nc_u32_e32 v9, 1, v6
	s_delay_alu instid0(VALU_DEP_2) | instskip(NEXT) | instid1(VALU_DEP_1)
	v_sub_nc_u32_e32 v7, v10, v7
	v_subrev_nc_u32_e32 v12, s24, v7
	v_cmp_le_u32_e32 vcc_lo, s24, v7
	s_wait_alu 0xfffd
	s_delay_alu instid0(VALU_DEP_2) | instskip(NEXT) | instid1(VALU_DEP_1)
	v_dual_cndmask_b32 v7, v7, v12 :: v_dual_cndmask_b32 v6, v6, v9
	v_cmp_le_u32_e32 vcc_lo, s24, v7
	v_mov_b32_e32 v7, v8
	s_delay_alu instid0(VALU_DEP_3) | instskip(SKIP_1) | instid1(VALU_DEP_1)
	v_add_nc_u32_e32 v9, 1, v6
	s_wait_alu 0xfffd
	v_cndmask_b32_e32 v6, v6, v9, vcc_lo
.LBB0_6:                                ;   in Loop: Header=BB0_2 Depth=1
	s_wait_alu 0xfffe
	s_or_b32 exec_lo, exec_lo, s2
	v_mul_lo_u32 v9, v7, s24
	s_delay_alu instid0(VALU_DEP_2)
	v_mul_lo_u32 v14, v6, s25
	s_load_b64 s[26:27], s[18:19], 0x0
	v_mad_co_u64_u32 v[12:13], null, v6, s24, 0
	s_load_b64 s[24:25], s[16:17], 0x0
	s_add_nc_u64 s[20:21], s[20:21], 1
	s_add_nc_u64 s[16:17], s[16:17], 8
	s_wait_alu 0xfffe
	v_cmp_ge_u64_e64 s2, s[20:21], s[6:7]
	s_add_nc_u64 s[18:19], s[18:19], 8
	s_add_nc_u64 s[22:23], s[22:23], 8
	v_add3_u32 v9, v13, v14, v9
	v_sub_co_u32 v10, vcc_lo, v10, v12
	s_wait_alu 0xfffd
	s_delay_alu instid0(VALU_DEP_2) | instskip(SKIP_2) | instid1(VALU_DEP_1)
	v_sub_co_ci_u32_e32 v9, vcc_lo, v11, v9, vcc_lo
	s_and_b32 vcc_lo, exec_lo, s2
	s_wait_kmcnt 0x0
	v_mul_lo_u32 v11, s26, v9
	v_mul_lo_u32 v12, s27, v10
	v_mad_co_u64_u32 v[1:2], null, s26, v10, v[1:2]
	v_mul_lo_u32 v9, s24, v9
	v_mul_lo_u32 v13, s25, v10
	v_mad_co_u64_u32 v[4:5], null, s24, v10, v[4:5]
	s_delay_alu instid0(VALU_DEP_4) | instskip(NEXT) | instid1(VALU_DEP_2)
	v_add3_u32 v2, v12, v2, v11
	v_add3_u32 v5, v13, v5, v9
	s_wait_alu 0xfffe
	s_cbranch_vccnz .LBB0_9
; %bb.7:                                ;   in Loop: Header=BB0_2 Depth=1
	v_dual_mov_b32 v11, v7 :: v_dual_mov_b32 v10, v6
	s_branch .LBB0_2
.LBB0_8:
	v_dual_mov_b32 v5, v2 :: v_dual_mov_b32 v4, v1
	v_dual_mov_b32 v6, v10 :: v_dual_mov_b32 v7, v11
.LBB0_9:
	s_load_b64 s[2:3], s[0:1], 0x28
	v_mul_hi_u32 v13, 0x97b425f, v0
	s_lshl_b64 s[6:7], s[6:7], 3
                                        ; implicit-def: $vgpr10
	s_wait_kmcnt 0x0
	v_cmp_gt_u64_e64 s0, s[2:3], v[6:7]
	v_cmp_le_u64_e32 vcc_lo, s[2:3], v[6:7]
	s_wait_alu 0xfffe
	s_add_nc_u64 s[2:3], s[14:15], s[6:7]
	s_and_saveexec_b32 s1, vcc_lo
	s_wait_alu 0xfffe
	s_xor_b32 s1, exec_lo, s1
; %bb.10:
	v_mul_u32_u24_e32 v1, 27, v13
                                        ; implicit-def: $vgpr13
	s_delay_alu instid0(VALU_DEP_1)
	v_sub_nc_u32_e32 v10, v0, v1
                                        ; implicit-def: $vgpr0
                                        ; implicit-def: $vgpr1_vgpr2
; %bb.11:
	s_wait_alu 0xfffe
	s_or_saveexec_b32 s1, s1
	s_load_b64 s[2:3], s[2:3], 0x0
                                        ; implicit-def: $vgpr23
                                        ; implicit-def: $vgpr31
                                        ; implicit-def: $vgpr45
                                        ; implicit-def: $vgpr26
                                        ; implicit-def: $vgpr38
                                        ; implicit-def: $vgpr29
                                        ; implicit-def: $vgpr24
                                        ; implicit-def: $vgpr33
                                        ; implicit-def: $vgpr46
                                        ; implicit-def: $vgpr19
                                        ; implicit-def: $vgpr43
                                        ; implicit-def: $vgpr28
                                        ; implicit-def: $vgpr27
                                        ; implicit-def: $vgpr32
                                        ; implicit-def: $vgpr44
                                        ; implicit-def: $vgpr8
                                        ; implicit-def: $vgpr36
                                        ; implicit-def: $vgpr15
                                        ; implicit-def: $vgpr37
                                        ; implicit-def: $vgpr34
                                        ; implicit-def: $vgpr42
                                        ; implicit-def: $vgpr12
                                        ; implicit-def: $vgpr40
                                        ; implicit-def: $vgpr16
                                        ; implicit-def: $vgpr41
                                        ; implicit-def: $vgpr39
                                        ; implicit-def: $vgpr35
                                        ; implicit-def: $vgpr9
                                        ; implicit-def: $vgpr30
                                        ; implicit-def: $vgpr11
                                        ; implicit-def: $vgpr14
                                        ; implicit-def: $vgpr47
                                        ; implicit-def: $vgpr21
                                        ; implicit-def: $vgpr25
                                        ; implicit-def: $vgpr22
                                        ; implicit-def: $vgpr20
	s_xor_b32 exec_lo, exec_lo, s1
	s_cbranch_execz .LBB0_15
; %bb.12:
	s_add_nc_u64 s[6:7], s[12:13], s[6:7]
	v_lshlrev_b64_e32 v[1:2], 2, v[1:2]
	s_load_b64 s[6:7], s[6:7], 0x0
                                        ; implicit-def: $vgpr20
                                        ; implicit-def: $vgpr22
                                        ; implicit-def: $vgpr25
                                        ; implicit-def: $vgpr21
                                        ; implicit-def: $vgpr47
                                        ; implicit-def: $vgpr14
	s_wait_kmcnt 0x0
	v_mul_lo_u32 v10, s7, v6
	v_mul_lo_u32 v11, s6, v7
	v_mad_co_u64_u32 v[8:9], null, s6, v6, 0
	s_mov_b32 s6, exec_lo
	s_delay_alu instid0(VALU_DEP_1) | instskip(SKIP_1) | instid1(VALU_DEP_2)
	v_add3_u32 v9, v9, v11, v10
	v_mul_u32_u24_e32 v10, 27, v13
	v_lshlrev_b64_e32 v[8:9], 2, v[8:9]
	s_delay_alu instid0(VALU_DEP_2) | instskip(NEXT) | instid1(VALU_DEP_2)
	v_sub_nc_u32_e32 v10, v0, v10
	v_add_co_u32 v0, vcc_lo, s8, v8
	s_wait_alu 0xfffd
	s_delay_alu instid0(VALU_DEP_3) | instskip(NEXT) | instid1(VALU_DEP_3)
	v_add_co_ci_u32_e32 v8, vcc_lo, s9, v9, vcc_lo
	v_lshlrev_b32_e32 v9, 2, v10
	s_delay_alu instid0(VALU_DEP_3) | instskip(SKIP_1) | instid1(VALU_DEP_3)
	v_add_co_u32 v0, vcc_lo, v0, v1
	s_wait_alu 0xfffd
	v_add_co_ci_u32_e32 v1, vcc_lo, v8, v2, vcc_lo
	s_delay_alu instid0(VALU_DEP_2) | instskip(SKIP_1) | instid1(VALU_DEP_2)
	v_add_co_u32 v0, vcc_lo, v0, v9
	s_wait_alu 0xfffd
	v_add_co_ci_u32_e32 v1, vcc_lo, 0, v1, vcc_lo
	s_clause 0xe
	global_load_b32 v19, v[0:1], off offset:684
	global_load_b32 v8, v[0:1], off offset:792
	global_load_b32 v31, v[0:1], off
	global_load_b32 v33, v[0:1], off offset:108
	global_load_b32 v32, v[0:1], off offset:216
	;; [unrolled: 1-line block ×12, first 2 shown]
	v_cmpx_gt_u32_e32 9, v10
	s_cbranch_execz .LBB0_14
; %bb.13:
	s_clause 0x2
	global_load_b32 v47, v[0:1], off offset:540
	global_load_b32 v20, v[0:1], off offset:1116
	;; [unrolled: 1-line block ×3, first 2 shown]
	s_wait_loadcnt 0x2
	v_lshrrev_b32_e32 v14, 16, v47
	s_wait_loadcnt 0x1
	v_lshrrev_b32_e32 v22, 16, v20
	s_wait_loadcnt 0x0
	v_lshrrev_b32_e32 v21, 16, v25
.LBB0_14:
	s_wait_alu 0xfffe
	s_or_b32 exec_lo, exec_lo, s6
	s_wait_loadcnt 0xc
	v_lshrrev_b32_e32 v23, 16, v31
	s_wait_loadcnt 0x7
	v_lshrrev_b32_e32 v45, 16, v26
	;; [unrolled: 2-line block ×3, first 2 shown]
	v_lshrrev_b32_e32 v24, 16, v33
	v_lshrrev_b32_e32 v46, 16, v19
	;; [unrolled: 1-line block ×10, first 2 shown]
	s_wait_loadcnt 0x0
	v_lshrrev_b32_e32 v35, 16, v9
	v_lshrrev_b32_e32 v30, 16, v11
.LBB0_15:
	s_or_b32 exec_lo, exec_lo, s1
	v_and_b32_e32 v0, 1, v3
	v_add_f16_e32 v1, v26, v29
	v_add_f16_e32 v2, v31, v26
	;; [unrolled: 1-line block ×3, first 2 shown]
	v_mad_u32_u24 v50, v10, 6, 0
	v_cmp_eq_u32_e32 vcc_lo, 1, v0
	v_fmac_f16_e32 v31, -0.5, v1
	v_sub_f16_e32 v0, v45, v38
	v_add_f16_e32 v48, v2, v29
	v_add_f16_e32 v1, v33, v19
	v_fmac_f16_e32 v33, -0.5, v3
	v_sub_f16_e32 v2, v46, v43
	v_fmamk_f16 v3, v0, 0xbaee, v31
	v_fmac_f16_e32 v31, 0x3aee, v0
	v_add_f16_e32 v51, v1, v28
	v_add_f16_e32 v0, v8, v15
	v_fmamk_f16 v52, v2, 0xbaee, v33
	v_add_f16_e32 v1, v32, v8
	v_fmac_f16_e32 v33, 0x3aee, v2
	v_add_f16_e32 v2, v12, v16
	s_wait_alu 0xfffd
	v_cndmask_b32_e64 v49, 0, 0x1b0, vcc_lo
	v_fmac_f16_e32 v32, -0.5, v0
	v_sub_f16_e32 v0, v44, v36
	v_add_f16_e32 v53, v1, v15
	v_add_f16_e32 v1, v34, v12
	v_fmac_f16_e32 v34, -0.5, v2
	v_sub_f16_e32 v2, v42, v40
	v_fmamk_f16 v54, v0, 0xbaee, v32
	v_fmac_f16_e32 v32, 0x3aee, v0
	v_add_f16_e32 v0, v9, v11
	v_lshlrev_b32_e32 v13, 1, v49
	v_fmamk_f16 v56, v2, 0xbaee, v34
	v_fmac_f16_e32 v34, 0x3aee, v2
	v_add_f16_e32 v2, v25, v20
	v_add_f16_e32 v55, v1, v16
	;; [unrolled: 1-line block ×3, first 2 shown]
	v_fmac_f16_e32 v39, -0.5, v0
	v_sub_f16_e32 v18, v35, v30
	v_fma_f16 v17, -0.5, v2, v47
	v_sub_f16_e32 v2, v22, v21
	v_add_nc_u32_e32 v0, v50, v13
	v_add_nc_u32_e32 v50, 0x288, v50
	v_add_f16_e32 v57, v1, v11
	v_fmamk_f16 v58, v18, 0xbaee, v39
	v_fmac_f16_e32 v39, 0x3aee, v18
	v_fmamk_f16 v18, v2, 0xbaee, v17
	v_fmac_f16_e32 v17, 0x3aee, v2
	v_add_nc_u32_e32 v1, 0xa2, v0
	v_add_nc_u32_e32 v2, 0x144, v0
	ds_store_b16 v0, v48
	ds_store_b16 v0, v3 offset:2
	ds_store_b16 v0, v31 offset:4
	;; [unrolled: 1-line block ×7, first 2 shown]
	v_add_nc_u32_e32 v48, 0x1e6, v0
	v_add_nc_u32_e32 v3, v50, v13
	v_cmp_gt_u32_e32 vcc_lo, 9, v10
	ds_store_b16 v0, v32 offset:328
	ds_store_b16 v0, v55 offset:486
	;; [unrolled: 1-line block ×4, first 2 shown]
	ds_store_b16 v3, v57
	ds_store_b16 v3, v58 offset:2
	ds_store_b16 v3, v39 offset:4
	s_and_saveexec_b32 s1, vcc_lo
	s_cbranch_execz .LBB0_17
; %bb.16:
	v_add_f16_e32 v31, v47, v20
	v_lshl_add_u32 v32, v49, 1, v50
	s_delay_alu instid0(VALU_DEP_2)
	v_add_f16_e32 v31, v25, v31
	ds_store_b16 v32, v31 offset:162
	ds_store_b16 v32, v18 offset:164
	;; [unrolled: 1-line block ×3, first 2 shown]
.LBB0_17:
	s_wait_alu 0xfffe
	s_or_b32 exec_lo, exec_lo, s1
	v_add_f16_e32 v31, v45, v38
	v_add_f16_e32 v32, v23, v45
	v_sub_f16_e32 v26, v26, v29
	v_add_f16_e32 v29, v46, v43
	v_sub_f16_e32 v19, v19, v28
	v_fmac_f16_e32 v23, -0.5, v31
	v_add_f16_e32 v31, v24, v46
	v_add_f16_e32 v28, v27, v44
	v_fmac_f16_e32 v24, -0.5, v29
	v_sub_f16_e32 v8, v8, v15
	v_fmamk_f16 v46, v26, 0x3aee, v23
	v_fmac_f16_e32 v23, 0xbaee, v26
	v_add_f16_e32 v26, v44, v36
	v_fmamk_f16 v47, v19, 0x3aee, v24
	v_fmac_f16_e32 v24, 0xbaee, v19
	v_add_f16_e32 v19, v42, v40
	v_add_f16_e32 v15, v37, v42
	v_fmac_f16_e32 v27, -0.5, v26
	v_sub_f16_e32 v12, v12, v16
	v_sub_f16_e32 v9, v9, v11
	v_fmac_f16_e32 v37, -0.5, v19
	v_add_f16_e32 v49, v15, v40
	v_fmamk_f16 v42, v8, 0x3aee, v27
	v_fmac_f16_e32 v27, 0xbaee, v8
	v_add_f16_e32 v8, v35, v30
	v_fmamk_f16 v50, v12, 0x3aee, v37
	v_fmac_f16_e32 v37, 0xbaee, v12
	v_add_f16_e32 v12, v41, v35
	v_add_f16_e32 v15, v21, v22
	v_fmac_f16_e32 v41, -0.5, v8
	v_lshlrev_b32_e32 v8, 1, v10
	v_add_f16_e32 v45, v32, v38
	v_add_f16_e32 v43, v31, v43
	v_fma_f16 v19, -0.5, v15, v14
	v_fmamk_f16 v52, v9, 0x3aee, v41
	v_fmac_f16_e32 v41, 0xbaee, v9
	v_add_nc_u32_e32 v9, 0, v8
	v_add3_u32 v16, 0, v13, v8
	v_add_f16_e32 v44, v28, v36
	v_sub_f16_e32 v11, v20, v25
	v_add_f16_e32 v51, v12, v30
	v_add_nc_u32_e32 v15, v9, v13
	global_wb scope:SCOPE_SE
	s_wait_dscnt 0x0
	s_wait_kmcnt 0x0
	s_barrier_signal -1
	s_barrier_wait -1
	global_inv scope:SCOPE_SE
	ds_load_u16 v12, v16
	ds_load_u16 v40, v15 offset:54
	ds_load_u16 v39, v15 offset:108
	;; [unrolled: 1-line block ×15, first 2 shown]
	v_fmamk_f16 v20, v11, 0x3aee, v19
	v_fmac_f16_e32 v19, 0xbaee, v11
	v_add_nc_u32_e32 v11, 0x87, v10
	global_wb scope:SCOPE_SE
	s_wait_dscnt 0x0
	s_barrier_signal -1
	s_barrier_wait -1
	global_inv scope:SCOPE_SE
	ds_store_b16 v0, v45
	ds_store_b16 v0, v46 offset:2
	ds_store_b16 v0, v23 offset:4
	ds_store_b16 v1, v43
	ds_store_b16 v1, v47 offset:2
	ds_store_b16 v1, v24 offset:4
	;; [unrolled: 3-line block ×5, first 2 shown]
	s_and_saveexec_b32 s1, vcc_lo
	s_cbranch_execz .LBB0_19
; %bb.18:
	v_add_f16_e32 v0, v14, v22
	v_mul_u32_u24_e32 v1, 6, v11
	s_delay_alu instid0(VALU_DEP_2) | instskip(NEXT) | instid1(VALU_DEP_2)
	v_add_f16_e32 v0, v21, v0
	v_add3_u32 v1, 0, v1, v13
	ds_store_b16 v1, v0
	ds_store_b16 v1, v20 offset:2
	ds_store_b16 v1, v19 offset:4
.LBB0_19:
	s_wait_alu 0xfffe
	s_or_b32 exec_lo, exec_lo, s1
	v_and_b32_e32 v0, 0xff, v10
	global_wb scope:SCOPE_SE
	s_wait_dscnt 0x0
	s_barrier_signal -1
	s_barrier_wait -1
	global_inv scope:SCOPE_SE
	v_mul_lo_u16 v0, 0xab, v0
	s_delay_alu instid0(VALU_DEP_1) | instskip(NEXT) | instid1(VALU_DEP_1)
	v_lshrrev_b16 v14, 9, v0
	v_mul_lo_u16 v0, v14, 3
	v_and_b32_e32 v14, 0xffff, v14
	s_delay_alu instid0(VALU_DEP_2) | instskip(NEXT) | instid1(VALU_DEP_1)
	v_sub_nc_u16 v0, v10, v0
	v_and_b32_e32 v21, 0xff, v0
	s_delay_alu instid0(VALU_DEP_1) | instskip(NEXT) | instid1(VALU_DEP_1)
	v_mul_u32_u24_e32 v0, 15, v21
	v_lshlrev_b32_e32 v22, 2, v0
	s_clause 0x3
	global_load_b128 v[43:46], v22, s[4:5]
	global_load_b128 v[0:3], v22, s[4:5] offset:16
	global_load_b128 v[47:50], v22, s[4:5] offset:32
	global_load_b96 v[51:53], v22, s[4:5] offset:48
	v_mul_u32_u24_e32 v22, 48, v14
	ds_load_u16 v14, v16
	ds_load_u16 v24, v15 offset:54
	ds_load_u16 v27, v15 offset:108
	;; [unrolled: 1-line block ×7, first 2 shown]
	v_or_b32_e32 v21, v22, v21
	ds_load_u16 v37, v15 offset:432
	ds_load_u16 v22, v15 offset:486
	;; [unrolled: 1-line block ×8, first 2 shown]
	global_wb scope:SCOPE_SE
	s_wait_loadcnt_dscnt 0x0
	s_barrier_signal -1
	s_barrier_wait -1
	v_lshlrev_b32_e32 v21, 1, v21
	global_inv scope:SCOPE_SE
	v_add3_u32 v23, 0, v21, v13
	v_lshrrev_b32_e32 v21, 16, v43
	v_lshrrev_b32_e32 v64, 16, v44
	;; [unrolled: 1-line block ×15, first 2 shown]
	v_mul_f16_e32 v77, v24, v21
	v_mul_f16_e32 v21, v40, v21
	;; [unrolled: 1-line block ×29, first 2 shown]
	v_fmac_f16_e32 v77, v40, v43
	v_fma_f16 v21, v24, v43, -v21
	v_fmac_f16_e32 v78, v39, v44
	v_fma_f16 v24, v27, v44, -v64
	v_fmac_f16_e32 v79, v38, v45
	v_fmac_f16_e32 v80, v36, v46
	v_fma_f16 v36, v54, v46, -v66
	v_fmac_f16_e32 v81, v35, v0
	v_fma_f16 v0, v55, v0, -v67
	;; [unrolled: 2-line block ×4, first 2 shown]
	v_fmac_f16_e32 v84, v9, v3
	v_fmac_f16_e32 v85, v32, v47
	v_fma_f16 v22, v22, v47, -v70
	v_fmac_f16_e32 v86, v31, v48
	v_fma_f16 v31, v58, v48, -v71
	v_fmac_f16_e32 v87, v30, v49
	v_fmac_f16_e32 v88, v29, v50
	v_fma_f16 v29, v60, v50, -v73
	v_fmac_f16_e32 v89, v28, v51
	v_fma_f16 v28, v61, v51, -v74
	;; [unrolled: 2-line block ×4, first 2 shown]
	v_fma_f16 v27, v41, v45, -v65
	v_fma_f16 v30, v59, v49, -v72
	v_sub_f16_e32 v32, v12, v84
	v_sub_f16_e32 v43, v36, v29
	;; [unrolled: 1-line block ×15, first 2 shown]
	v_fma_f16 v44, v78, 2.0, -v29
	v_fma_f16 v47, v24, 2.0, -v31
	;; [unrolled: 1-line block ×11, first 2 shown]
	v_add_f16_e32 v52, v32, v43
	v_add_f16_e32 v53, v29, v26
	v_sub_f16_e32 v54, v31, v33
	v_add_f16_e32 v26, v34, v28
	v_add_f16_e32 v25, v39, v25
	v_fma_f16 v12, v12, 2.0, -v32
	v_fma_f16 v41, v80, 2.0, -v38
	;; [unrolled: 1-line block ×3, first 2 shown]
	v_sub_f16_e32 v28, v22, v35
	v_sub_f16_e32 v33, v30, v40
	v_fma_f16 v32, v32, 2.0, -v52
	v_sub_f16_e32 v1, v44, v24
	v_fma_f16 v55, v29, 2.0, -v53
	v_fma_f16 v57, v31, 2.0, -v54
	v_sub_f16_e32 v24, v46, v48
	v_sub_f16_e32 v29, v21, v0
	v_fma_f16 v31, v34, 2.0, -v26
	v_sub_f16_e32 v34, v49, v51
	v_fma_f16 v48, v39, 2.0, -v25
	v_sub_f16_e32 v40, v12, v41
	v_sub_f16_e32 v50, v47, v45
	v_fma_f16 v22, v22, 2.0, -v28
	v_sub_f16_e32 v41, v27, v2
	v_fma_f16 v30, v30, 2.0, -v33
	v_fmamk_f16 v56, v53, 0x39a8, v52
	v_fmamk_f16 v0, v25, 0x39a8, v26
	v_fma_f16 v46, v46, 2.0, -v24
	v_fma_f16 v51, v21, 2.0, -v29
	;; [unrolled: 1-line block ×3, first 2 shown]
	v_fmamk_f16 v59, v55, 0xb9a8, v32
	v_fmamk_f16 v2, v48, 0xb9a8, v31
	;; [unrolled: 1-line block ×3, first 2 shown]
	v_fma_f16 v58, v12, 2.0, -v40
	v_fma_f16 v12, v44, 2.0, -v1
	;; [unrolled: 1-line block ×3, first 2 shown]
	v_add_f16_e32 v60, v40, v50
	v_fmac_f16_e32 v56, 0x39a8, v54
	v_fmamk_f16 v39, v30, 0xb9a8, v22
	v_add_f16_e32 v61, v24, v41
	v_fmac_f16_e32 v0, 0x39a8, v33
	v_fmac_f16_e32 v59, 0x39a8, v57
	v_sub_f16_e32 v45, v46, v21
	v_fmac_f16_e32 v2, 0x39a8, v30
	v_sub_f16_e32 v62, v29, v34
	;; [unrolled: 2-line block ×3, first 2 shown]
	v_fma_f16 v33, v40, 2.0, -v60
	v_fma_f16 v34, v52, 2.0, -v56
	v_sub_f16_e32 v52, v51, v27
	v_fmac_f16_e32 v39, 0xb9a8, v48
	v_fma_f16 v63, v24, 2.0, -v61
	v_fma_f16 v44, v26, 2.0, -v0
	;; [unrolled: 1-line block ×7, first 2 shown]
	v_fmamk_f16 v21, v61, 0x39a8, v60
	v_fmamk_f16 v12, v0, 0x3b64, v56
	v_fma_f16 v24, v58, 2.0, -v25
	v_fma_f16 v49, v22, 2.0, -v39
	v_fmamk_f16 v22, v63, 0xb9a8, v33
	v_fmamk_f16 v28, v44, 0xb61f, v34
	;; [unrolled: 1-line block ×4, first 2 shown]
	v_add_f16_e32 v29, v25, v52
	v_fmac_f16_e32 v21, 0x39a8, v62
	v_fmac_f16_e32 v12, 0x361f, v35
	v_sub_f16_e32 v27, v24, v27
	v_fmac_f16_e32 v22, 0x39a8, v64
	v_fmac_f16_e32 v28, 0x3b64, v48
	v_fmac_f16_e32 v30, 0x3b64, v39
	v_fmac_f16_e32 v31, 0x361f, v49
	v_fma_f16 v25, v25, 2.0, -v29
	v_fma_f16 v32, v60, 2.0, -v21
	;; [unrolled: 1-line block ×8, first 2 shown]
	ds_store_b16 v23, v27 offset:48
	ds_store_b16 v23, v31 offset:54
	;; [unrolled: 1-line block ×8, first 2 shown]
	ds_store_b16 v23, v24
	ds_store_b16 v23, v26 offset:6
	ds_store_b16 v23, v33 offset:12
	;; [unrolled: 1-line block ×7, first 2 shown]
	global_wb scope:SCOPE_SE
	s_wait_dscnt 0x0
	s_barrier_signal -1
	s_barrier_wait -1
	global_inv scope:SCOPE_SE
	ds_load_u16 v32, v15 offset:342
	ds_load_u16 v31, v15 offset:396
	ds_load_u16 v26, v16
	ds_load_u16 v25, v15 offset:54
	ds_load_u16 v24, v15 offset:108
	;; [unrolled: 1-line block ×12, first 2 shown]
	v_mul_f16_e32 v56, 0x39a8, v55
	v_mul_f16_e32 v59, 0x39a8, v57
	;; [unrolled: 1-line block ×8, first 2 shown]
	s_and_saveexec_b32 s1, vcc_lo
	s_cbranch_execz .LBB0_21
; %bb.20:
	ds_load_u16 v12, v15 offset:270
	ds_load_u16 v18, v15 offset:558
	;; [unrolled: 1-line block ×3, first 2 shown]
.LBB0_21:
	s_wait_alu 0xfffe
	s_or_b32 exec_lo, exec_lo, s1
	v_mul_f16_e32 v9, v9, v42
	global_wb scope:SCOPE_SE
	s_wait_dscnt 0x0
	s_barrier_signal -1
	s_barrier_wait -1
	global_inv scope:SCOPE_SE
	v_fma_f16 v3, v37, v3, -v9
	v_fma_f16 v9, v36, 2.0, -v43
	v_fma_f16 v37, v47, 2.0, -v50
	s_delay_alu instid0(VALU_DEP_3) | instskip(NEXT) | instid1(VALU_DEP_1)
	v_sub_f16_e32 v3, v14, v3
	v_fma_f16 v14, v14, 2.0, -v3
	v_sub_f16_e32 v36, v3, v38
	v_fma_f16 v38, v51, 2.0, -v52
	s_delay_alu instid0(VALU_DEP_3) | instskip(NEXT) | instid1(VALU_DEP_3)
	v_sub_f16_e32 v9, v14, v9
	v_fma_f16 v3, v3, 2.0, -v36
	v_add_f16_e32 v42, v36, v60
	s_delay_alu instid0(VALU_DEP_3) | instskip(NEXT) | instid1(VALU_DEP_3)
	v_fma_f16 v43, v14, 2.0, -v9
	v_sub_f16_e32 v14, v3, v59
	s_delay_alu instid0(VALU_DEP_3) | instskip(SKIP_1) | instid1(VALU_DEP_4)
	v_sub_f16_e32 v42, v42, v58
	v_sub_f16_e32 v1, v9, v1
	;; [unrolled: 1-line block ×3, first 2 shown]
	s_delay_alu instid0(VALU_DEP_4) | instskip(NEXT) | instid1(VALU_DEP_4)
	v_sub_f16_e32 v47, v14, v56
	v_fmamk_f16 v14, v35, 0x3b64, v42
	s_delay_alu instid0(VALU_DEP_4)
	v_fma_f16 v9, v9, 2.0, -v1
	v_fma_f16 v36, v36, 2.0, -v42
	;; [unrolled: 1-line block ×4, first 2 shown]
	v_fmac_f16_e32 v14, 0xb61f, v0
	v_sub_f16_e32 v43, v9, v55
	v_fmamk_f16 v48, v48, 0xb61f, v36
	v_fmamk_f16 v39, v39, 0x361f, v47
	;; [unrolled: 1-line block ×3, first 2 shown]
	v_add_f16_e32 v50, v1, v57
	v_sub_f16_e32 v38, v35, v38
	v_sub_f16_e32 v43, v43, v53
	v_fmac_f16_e32 v48, 0xbb64, v44
	v_fmac_f16_e32 v0, 0xb61f, v46
	v_sub_f16_e32 v45, v37, v45
	v_fmac_f16_e32 v39, 0xbb64, v2
	v_sub_f16_e32 v50, v50, v54
	v_fma_f16 v35, v35, 2.0, -v38
	v_fma_f16 v3, v3, 2.0, -v0
	;; [unrolled: 1-line block ×8, first 2 shown]
	ds_store_b16 v23, v35
	ds_store_b16 v23, v3 offset:6
	ds_store_b16 v23, v9 offset:12
	;; [unrolled: 1-line block ×15, first 2 shown]
	global_wb scope:SCOPE_SE
	s_wait_dscnt 0x0
	s_barrier_signal -1
	s_barrier_wait -1
	global_inv scope:SCOPE_SE
	ds_load_u16 v47, v15 offset:342
	ds_load_u16 v46, v15 offset:396
	ds_load_u16 v39, v16
	ds_load_u16 v38, v15 offset:54
	ds_load_u16 v36, v15 offset:108
	;; [unrolled: 1-line block ×12, first 2 shown]
	s_and_saveexec_b32 s1, vcc_lo
	s_cbranch_execz .LBB0_23
; %bb.22:
	ds_load_u16 v14, v15 offset:270
	ds_load_u16 v20, v15 offset:558
	;; [unrolled: 1-line block ×3, first 2 shown]
.LBB0_23:
	s_wait_alu 0xfffe
	s_or_b32 exec_lo, exec_lo, s1
	v_add_nc_u32_e32 v23, 27, v10
	v_subrev_nc_u32_e32 v0, 21, v10
	v_cmp_gt_u32_e64 s1, 21, v10
	v_dual_mov_b32 v9, 0 :: v_dual_add_nc_u32 v2, 0x6c, v10
	v_add_nc_u32_e32 v35, 0x51, v10
	v_and_b32_e32 v57, 0xff, v11
	s_wait_alu 0xf1ff
	v_cndmask_b32_e64 v50, v0, v23, s1
	v_mov_b32_e32 v51, v9
	v_lshlrev_b64_e32 v[0:1], 2, v[8:9]
	v_add_nc_u32_e32 v8, 12, v8
	v_and_b32_e32 v56, 0xff, v2
	v_lshlrev_b32_e32 v50, 1, v50
	v_mul_lo_u16 v57, 0xab, v57
	v_add_co_u32 v0, s1, s4, v0
	s_delay_alu instid0(VALU_DEP_3)
	v_lshlrev_b64_e32 v[54:55], 2, v[50:51]
	v_lshlrev_b64_e32 v[8:9], 2, v[8:9]
	s_wait_alu 0xf1ff
	v_add_co_ci_u32_e64 v1, s1, s5, v1, s1
	v_and_b32_e32 v51, 0xff, v35
	v_mul_lo_u16 v56, 0xab, v56
	v_add_co_u32 v54, s1, s4, v54
	s_wait_alu 0xf1ff
	v_add_co_ci_u32_e64 v55, s1, s5, v55, s1
	v_add_co_u32 v8, s1, s4, v8
	v_mul_lo_u16 v51, 0xab, v51
	s_wait_alu 0xf1ff
	v_add_co_ci_u32_e64 v9, s1, s5, v9, s1
	s_clause 0x1
	global_load_b64 v[58:59], v[0:1], off offset:180
	global_load_b64 v[60:61], v[54:55], off offset:180
	v_lshrrev_b16 v51, 13, v51
	global_load_b64 v[8:9], v[8:9], off offset:180
	v_lshrrev_b16 v54, 13, v56
	v_lshrrev_b16 v55, 13, v57
	v_cmp_lt_u32_e64 s1, 20, v10
	v_mul_lo_u16 v56, v51, 48
	s_delay_alu instid0(VALU_DEP_4) | instskip(NEXT) | instid1(VALU_DEP_4)
	v_mul_lo_u16 v54, v54, 48
	v_mul_lo_u16 v55, v55, 48
	s_delay_alu instid0(VALU_DEP_3) | instskip(NEXT) | instid1(VALU_DEP_3)
	v_sub_nc_u16 v56, v35, v56
	v_sub_nc_u16 v54, v2, v54
	s_delay_alu instid0(VALU_DEP_3) | instskip(NEXT) | instid1(VALU_DEP_3)
	v_sub_nc_u16 v55, v11, v55
	v_and_b32_e32 v56, 0xff, v56
	s_delay_alu instid0(VALU_DEP_3) | instskip(NEXT) | instid1(VALU_DEP_3)
	v_and_b32_e32 v54, 0xff, v54
	v_and_b32_e32 v55, 0xff, v55
	s_delay_alu instid0(VALU_DEP_3) | instskip(NEXT) | instid1(VALU_DEP_3)
	v_lshlrev_b32_e32 v57, 3, v56
	v_lshlrev_b32_e32 v62, 3, v54
	s_delay_alu instid0(VALU_DEP_3)
	v_lshlrev_b32_e32 v63, 3, v55
	s_clause 0x2
	global_load_b64 v[67:68], v57, s[4:5] offset:180
	global_load_b64 v[69:70], v62, s[4:5] offset:180
	;; [unrolled: 1-line block ×3, first 2 shown]
	s_wait_alu 0xf1ff
	v_cndmask_b32_e64 v57, 0, 0x120, s1
	v_and_b32_e32 v62, 0xffff, v51
	global_wb scope:SCOPE_SE
	s_wait_loadcnt_dscnt 0x0
	s_barrier_signal -1
	s_barrier_wait -1
	v_add_nc_u32_e32 v57, 0, v57
	global_inv scope:SCOPE_SE
	v_add3_u32 v51, v57, v50, v13
	v_mad_u32_u24 v57, 0x120, v62, 0
	v_lshlrev_b32_e32 v50, 1, v55
	v_lshlrev_b32_e32 v55, 1, v56
	;; [unrolled: 1-line block ×3, first 2 shown]
	s_delay_alu instid0(VALU_DEP_2) | instskip(NEXT) | instid1(VALU_DEP_2)
	v_add3_u32 v54, v57, v55, v13
	v_add3_u32 v55, 0, v62, v13
	v_lshrrev_b32_e32 v63, 16, v58
	v_lshrrev_b32_e32 v64, 16, v59
	s_delay_alu instid0(VALU_DEP_2) | instskip(NEXT) | instid1(VALU_DEP_2)
	v_mul_f16_e32 v56, v52, v63
	v_mul_f16_e32 v57, v53, v64
	;; [unrolled: 1-line block ×4, first 2 shown]
	s_delay_alu instid0(VALU_DEP_4) | instskip(NEXT) | instid1(VALU_DEP_4)
	v_fmac_f16_e32 v56, v40, v58
	v_fmac_f16_e32 v57, v41, v59
	v_lshrrev_b32_e32 v40, 16, v60
	v_lshrrev_b32_e32 v41, 16, v61
	v_fma_f16 v62, v52, v58, -v63
	v_lshrrev_b32_e32 v52, 16, v8
	v_lshrrev_b32_e32 v63, 16, v9
	v_fma_f16 v53, v53, v59, -v64
	v_mul_f16_e32 v64, v32, v40
	v_mul_f16_e32 v59, v49, v41
	;; [unrolled: 1-line block ×8, first 2 shown]
	v_fma_f16 v65, v47, v60, -v64
	v_fmac_f16_e32 v59, v34, v61
	v_fma_f16 v64, v49, v61, -v66
	v_lshrrev_b32_e32 v34, 16, v71
	v_lshrrev_b32_e32 v66, 16, v72
	v_add_f16_e32 v74, v56, v57
	v_fmac_f16_e32 v58, v32, v60
	v_fmac_f16_e32 v40, v31, v8
	v_fma_f16 v60, v46, v8, -v52
	v_fmac_f16_e32 v41, v33, v9
	v_fma_f16 v52, v48, v9, -v63
	v_lshrrev_b32_e32 v9, 16, v67
	v_lshrrev_b32_e32 v31, 16, v68
	v_lshrrev_b32_e32 v32, 16, v69
	v_lshrrev_b32_e32 v33, 16, v70
	v_mul_f16_e32 v47, v20, v34
	v_mul_f16_e32 v49, v19, v66
	v_add_f16_e32 v73, v26, v56
	v_sub_f16_e32 v75, v62, v53
	v_fmac_f16_e32 v26, -0.5, v74
	v_mul_f16_e32 v61, v42, v9
	v_mul_f16_e32 v63, v44, v31
	;; [unrolled: 1-line block ×8, first 2 shown]
	v_fmac_f16_e32 v47, v18, v71
	v_fmac_f16_e32 v49, v17, v72
	v_add_f16_e32 v8, v73, v57
	v_fmamk_f16 v73, v75, 0xbaee, v26
	v_fmac_f16_e32 v26, 0x3aee, v75
	v_add_f16_e32 v75, v58, v59
	v_mul_f16_e32 v31, v29, v31
	v_fmac_f16_e32 v61, v27, v67
	v_fmac_f16_e32 v63, v29, v68
	v_add_f16_e32 v78, v40, v41
	v_mul_f16_e32 v32, v30, v32
	v_fmac_f16_e32 v46, v30, v69
	v_fmac_f16_e32 v48, v28, v70
	v_add_f16_e32 v74, v25, v58
	v_fma_f16 v67, v42, v67, -v9
	v_fma_f16 v42, v43, v70, -v33
	;; [unrolled: 1-line block ×4, first 2 shown]
	v_add_f16_e32 v30, v47, v49
	v_sub_f16_e32 v76, v65, v64
	v_fmac_f16_e32 v25, -0.5, v75
	v_fma_f16 v66, v44, v68, -v31
	v_add_f16_e32 v19, v61, v63
	v_add_f16_e32 v77, v24, v40
	v_sub_f16_e32 v79, v60, v52
	v_fmac_f16_e32 v24, -0.5, v78
	v_fma_f16 v44, v45, v69, -v32
	v_add_f16_e32 v27, v46, v48
	v_add_f16_e32 v74, v74, v59
	v_add_f16_e32 v18, v21, v61
	v_add_f16_e32 v29, v12, v47
	v_sub_f16_e32 v31, v43, v17
	v_fmac_f16_e32 v12, -0.5, v30
	ds_store_b16 v15, v8
	ds_store_b16 v15, v73 offset:96
	ds_store_b16 v15, v26 offset:192
	v_fmamk_f16 v8, v76, 0xbaee, v25
	v_sub_f16_e32 v20, v67, v66
	v_fmac_f16_e32 v21, -0.5, v19
	v_fmac_f16_e32 v25, 0x3aee, v76
	v_add_f16_e32 v75, v77, v41
	v_add_f16_e32 v26, v22, v46
	v_fmamk_f16 v9, v79, 0xbaee, v24
	v_sub_f16_e32 v28, v44, v42
	v_fmac_f16_e32 v22, -0.5, v27
	v_fmac_f16_e32 v24, 0x3aee, v79
	ds_store_b16 v51, v74
	ds_store_b16 v51, v8 offset:96
	ds_store_b16 v51, v25 offset:192
	;; [unrolled: 1-line block ×5, first 2 shown]
	v_add_f16_e32 v18, v18, v63
	v_add_f16_e32 v8, v29, v49
	v_fmamk_f16 v9, v31, 0xbaee, v12
	v_fmac_f16_e32 v12, 0x3aee, v31
	v_fmamk_f16 v24, v20, 0xbaee, v21
	v_fmac_f16_e32 v21, 0x3aee, v20
	v_add_f16_e32 v19, v26, v48
	v_fmamk_f16 v20, v28, 0xbaee, v22
	v_fmac_f16_e32 v22, 0x3aee, v28
	ds_store_b16 v54, v18
	ds_store_b16 v54, v24 offset:96
	ds_store_b16 v54, v21 offset:192
	;; [unrolled: 1-line block ×5, first 2 shown]
	s_and_saveexec_b32 s1, vcc_lo
	s_cbranch_execz .LBB0_25
; %bb.24:
	v_add3_u32 v18, 0, v50, v13
	ds_store_b16 v18, v8 offset:576
	ds_store_b16 v18, v9 offset:672
	;; [unrolled: 1-line block ×3, first 2 shown]
.LBB0_25:
	s_wait_alu 0xfffe
	s_or_b32 exec_lo, exec_lo, s1
	global_wb scope:SCOPE_SE
	s_wait_dscnt 0x0
	s_barrier_signal -1
	s_barrier_wait -1
	global_inv scope:SCOPE_SE
	ds_load_u16 v22, v15 offset:342
	ds_load_u16 v27, v15 offset:396
	ds_load_u16 v20, v16
	ds_load_u16 v18, v15 offset:54
	ds_load_u16 v21, v15 offset:108
	;; [unrolled: 1-line block ×12, first 2 shown]
	v_add_nc_u32_e32 v45, 12, v15
	v_add_nc_u32_e32 v68, 0x180, v15
	s_and_saveexec_b32 s1, vcc_lo
	s_cbranch_execz .LBB0_27
; %bb.26:
	ds_load_u16 v8, v15 offset:270
	ds_load_u16 v9, v15 offset:558
	;; [unrolled: 1-line block ×3, first 2 shown]
.LBB0_27:
	s_wait_alu 0xfffe
	s_or_b32 exec_lo, exec_lo, s1
	v_add_f16_e32 v19, v62, v53
	v_sub_f16_e32 v56, v56, v57
	v_add_f16_e32 v57, v65, v64
	v_add_f16_e32 v62, v39, v62
	v_sub_f16_e32 v58, v58, v59
	v_fmac_f16_e32 v39, -0.5, v19
	v_add_f16_e32 v19, v38, v65
	v_fmac_f16_e32 v38, -0.5, v57
	v_add_f16_e32 v53, v62, v53
	global_wb scope:SCOPE_SE
	s_wait_dscnt 0x0
	v_fmamk_f16 v57, v56, 0x3aee, v39
	v_fmac_f16_e32 v39, 0xbaee, v56
	v_add_f16_e32 v56, v19, v64
	v_add_f16_e32 v19, v60, v52
	v_fmamk_f16 v59, v58, 0x3aee, v38
	v_add_f16_e32 v60, v36, v60
	v_fmac_f16_e32 v38, 0xbaee, v58
	v_add_f16_e32 v58, v67, v66
	v_fmac_f16_e32 v36, -0.5, v19
	v_sub_f16_e32 v19, v40, v41
	v_add_f16_e32 v40, v60, v52
	v_add_f16_e32 v41, v3, v67
	v_fmac_f16_e32 v3, -0.5, v58
	v_sub_f16_e32 v52, v61, v63
	v_fmamk_f16 v58, v19, 0x3aee, v36
	v_fmac_f16_e32 v36, 0xbaee, v19
	v_add_f16_e32 v19, v44, v42
	v_add_f16_e32 v44, v37, v44
	v_fmamk_f16 v60, v52, 0x3aee, v3
	v_fmac_f16_e32 v3, 0xbaee, v52
	v_add_f16_e32 v52, v43, v17
	v_fmac_f16_e32 v37, -0.5, v19
	v_sub_f16_e32 v19, v46, v48
	v_add_f16_e32 v43, v14, v43
	v_sub_f16_e32 v46, v47, v49
	v_fmac_f16_e32 v14, -0.5, v52
	v_add_f16_e32 v42, v44, v42
	v_fmamk_f16 v44, v19, 0x3aee, v37
	v_fmac_f16_e32 v37, 0xbaee, v19
	v_add_f16_e32 v17, v43, v17
	v_fmamk_f16 v19, v46, 0x3aee, v14
	v_fmac_f16_e32 v14, 0xbaee, v46
	v_add_f16_e32 v41, v41, v66
	s_barrier_signal -1
	s_barrier_wait -1
	global_inv scope:SCOPE_SE
	ds_store_b16 v15, v53
	ds_store_b16 v15, v57 offset:96
	ds_store_b16 v15, v39 offset:192
	ds_store_b16 v51, v56
	ds_store_b16 v51, v59 offset:96
	ds_store_b16 v51, v38 offset:192
	;; [unrolled: 1-line block ×5, first 2 shown]
	ds_store_b16 v54, v41
	ds_store_b16 v54, v60 offset:96
	ds_store_b16 v54, v3 offset:192
	;; [unrolled: 1-line block ×5, first 2 shown]
	s_and_saveexec_b32 s1, vcc_lo
	s_cbranch_execz .LBB0_29
; %bb.28:
	v_add3_u32 v3, 0, v50, v13
	ds_store_b16 v3, v17 offset:576
	ds_store_b16 v3, v19 offset:672
	;; [unrolled: 1-line block ×3, first 2 shown]
.LBB0_29:
	s_wait_alu 0xfffe
	s_or_b32 exec_lo, exec_lo, s1
	global_wb scope:SCOPE_SE
	s_wait_dscnt 0x0
	s_barrier_signal -1
	s_barrier_wait -1
	global_inv scope:SCOPE_SE
	ds_load_u16 v37, v15 offset:342
	ds_load_u16 v41, v15 offset:396
	ds_load_u16 v16, v16
	ds_load_u16 v13, v15 offset:54
	ds_load_u16 v36, v15 offset:108
	;; [unrolled: 1-line block ×12, first 2 shown]
	s_and_saveexec_b32 s1, vcc_lo
	s_cbranch_execz .LBB0_31
; %bb.30:
	ds_load_u16 v17, v15 offset:270
	ds_load_u16 v19, v15 offset:558
	;; [unrolled: 1-line block ×3, first 2 shown]
.LBB0_31:
	s_wait_alu 0xfffe
	s_or_b32 exec_lo, exec_lo, s1
	s_and_saveexec_b32 s1, s0
	s_cbranch_execz .LBB0_34
; %bb.32:
	v_dual_mov_b32 v3, 0 :: v_dual_lshlrev_b32 v2, 1, v2
	v_mul_lo_u32 v15, s3, v6
	v_mul_lo_u32 v7, s2, v7
	v_add_nc_u32_e32 v59, 0x51, v10
	v_add_nc_u32_e32 v60, 0x6c, v10
	v_lshlrev_b64_e32 v[49:50], 2, v[2:3]
	v_lshlrev_b32_e32 v2, 1, v35
	v_add_nc_u32_e32 v35, 54, v10
	v_mul_hi_u32 v63, 0x38e38e39, v59
	v_mul_hi_u32 v64, 0x38e38e39, v60
	v_lshlrev_b64_e32 v[4:5], 2, v[4:5]
	v_lshlrev_b64_e32 v[51:52], 2, v[2:3]
	v_lshl_add_u32 v2, v10, 1, 0x6c
	v_add_co_u32 v49, s0, s4, v49
	s_wait_alu 0xf1ff
	v_add_co_ci_u32_e64 v50, s0, s5, v50, s0
	s_delay_alu instid0(VALU_DEP_3) | instskip(SKIP_4) | instid1(VALU_DEP_4)
	v_lshlrev_b64_e32 v[53:54], 2, v[2:3]
	v_add_co_u32 v51, s0, s4, v51
	s_wait_alu 0xf1ff
	v_add_co_ci_u32_e64 v52, s0, s5, v52, s0
	v_lshlrev_b32_e32 v2, 1, v23
	v_add_co_u32 v53, s0, s4, v53
	s_wait_alu 0xf1ff
	v_add_co_ci_u32_e64 v54, s0, s5, v54, s0
	s_clause 0x3
	global_load_b64 v[49:50], v[49:50], off offset:564
	global_load_b64 v[51:52], v[51:52], off offset:564
	;; [unrolled: 1-line block ×4, first 2 shown]
	v_lshlrev_b64_e32 v[0:1], 2, v[2:3]
	v_add_nc_u32_e32 v23, 27, v10
	v_mul_hi_u32 v62, 0x38e38e39, v35
	v_lshrrev_b32_e32 v66, 5, v63
	v_lshrrev_b32_e32 v67, 5, v64
	v_add_co_u32 v0, s0, s4, v0
	s_wait_alu 0xf1ff
	v_add_co_ci_u32_e64 v1, s0, s5, v1, s0
	v_mul_hi_u32 v61, 0x38e38e39, v23
	v_lshrrev_b32_e32 v65, 5, v62
	v_mul_lo_u32 v62, 0x90, v66
	global_load_b64 v[57:58], v[0:1], off offset:564
	v_mad_co_u64_u32 v[1:2], null, s2, v6, 0
	v_mul_hi_u32 v6, 0x38e38e39, v10
	v_mul_lo_u32 v63, 0x90, v67
	v_add_nc_u32_e32 v0, 0x87, v10
	s_delay_alu instid0(VALU_DEP_4)
	v_add3_u32 v2, v2, v7, v15
	v_lshrrev_b32_e32 v15, 5, v61
	v_lshrrev_b32_e32 v6, 5, v6
	v_mul_lo_u32 v61, 0x90, v65
	v_cmp_gt_u32_e64 s0, 0x90, v0
	v_lshlrev_b64_e32 v[1:2], 2, v[1:2]
	v_mul_lo_u32 v7, 0x90, v15
	v_mul_lo_u32 v6, 0x90, v6
	s_delay_alu instid0(VALU_DEP_3) | instskip(SKIP_1) | instid1(VALU_DEP_4)
	v_add_co_u32 v1, s1, s10, v1
	s_wait_alu 0xf1fe
	v_add_co_ci_u32_e64 v2, s1, s11, v2, s1
	s_delay_alu instid0(VALU_DEP_3) | instskip(NEXT) | instid1(VALU_DEP_3)
	v_sub_nc_u32_e32 v6, v10, v6
	v_add_co_u32 v4, s1, v1, v4
	s_wait_alu 0xf1ff
	s_delay_alu instid0(VALU_DEP_3)
	v_add_co_ci_u32_e64 v5, s1, v2, v5, s1
	v_sub_nc_u32_e32 v1, v23, v7
	v_sub_nc_u32_e32 v2, v35, v61
	v_lshlrev_b32_e32 v64, 2, v6
	v_sub_nc_u32_e32 v6, v59, v62
	v_sub_nc_u32_e32 v7, v60, v63
	s_delay_alu instid0(VALU_DEP_4)
	v_mad_co_u64_u32 v[61:62], null, 0x1b0, v15, v[1:2]
	v_mov_b32_e32 v62, v3
	v_add_co_u32 v59, s1, v4, v64
	v_mad_co_u64_u32 v[63:64], null, 0x1b0, v65, v[2:3]
	v_mad_co_u64_u32 v[65:66], null, 0x1b0, v66, v[6:7]
	v_mov_b32_e32 v64, v3
	v_mad_co_u64_u32 v[6:7], null, 0x1b0, v67, v[7:8]
	v_lshlrev_b64_e32 v[67:68], 2, v[61:62]
	v_mov_b32_e32 v66, v3
	v_add_nc_u32_e32 v2, 0x90, v61
	v_lshlrev_b64_e32 v[69:70], 2, v[63:64]
	v_mov_b32_e32 v7, v3
	s_wait_alu 0xf1ff
	v_add_co_ci_u32_e64 v60, s1, 0, v5, s1
	v_lshlrev_b64_e32 v[71:72], 2, v[65:66]
	v_lshlrev_b64_e32 v[75:76], 2, v[2:3]
	v_add_nc_u32_e32 v2, 0x120, v61
	v_add_co_u32 v61, s1, v4, v67
	s_wait_alu 0xf1ff
	v_add_co_ci_u32_e64 v62, s1, v5, v68, s1
	v_lshlrev_b64_e32 v[73:74], 2, v[6:7]
	v_add_co_u32 v66, s1, v4, v69
	s_wait_alu 0xf1ff
	v_add_co_ci_u32_e64 v67, s1, v5, v70, s1
	v_add_co_u32 v68, s1, v4, v71
	s_wait_alu 0xf1ff
	v_add_co_ci_u32_e64 v69, s1, v5, v72, s1
	v_add_co_u32 v70, s1, v4, v73
	v_lshlrev_b64_e32 v[72:73], 2, v[2:3]
	v_add_nc_u32_e32 v2, 0x90, v63
	s_wait_alu 0xf1ff
	v_add_co_ci_u32_e64 v71, s1, v5, v74, s1
	v_add_co_u32 v74, s1, v4, v75
	s_wait_alu 0xf1ff
	v_add_co_ci_u32_e64 v75, s1, v5, v76, s1
	v_lshlrev_b64_e32 v[76:77], 2, v[2:3]
	v_add_nc_u32_e32 v2, 0x120, v63
	v_add_co_u32 v63, s1, v4, v72
	s_wait_alu 0xf1ff
	v_add_co_ci_u32_e64 v64, s1, v5, v73, s1
	s_delay_alu instid0(VALU_DEP_3) | instskip(SKIP_4) | instid1(VALU_DEP_3)
	v_lshlrev_b64_e32 v[72:73], 2, v[2:3]
	v_add_nc_u32_e32 v2, 0x90, v65
	v_add_co_u32 v76, s1, v4, v76
	s_wait_alu 0xf1ff
	v_add_co_ci_u32_e64 v77, s1, v5, v77, s1
	v_lshlrev_b64_e32 v[78:79], 2, v[2:3]
	v_add_nc_u32_e32 v2, 0x120, v65
	v_add_co_u32 v72, s1, v4, v72
	s_wait_alu 0xf1ff
	v_add_co_ci_u32_e64 v73, s1, v5, v73, s1
	s_delay_alu instid0(VALU_DEP_3) | instskip(SKIP_4) | instid1(VALU_DEP_3)
	v_lshlrev_b64_e32 v[80:81], 2, v[2:3]
	v_add_nc_u32_e32 v2, 0x90, v6
	v_add_co_u32 v78, s1, v4, v78
	s_wait_alu 0xf1ff
	v_add_co_ci_u32_e64 v79, s1, v5, v79, s1
	v_lshlrev_b64_e32 v[82:83], 2, v[2:3]
	v_add_nc_u32_e32 v2, 0x120, v6
	v_add_co_u32 v6, s1, v4, v80
	s_wait_alu 0xf1ff
	v_add_co_ci_u32_e64 v7, s1, v5, v81, s1
	s_delay_alu instid0(VALU_DEP_4) | instskip(SKIP_3) | instid1(VALU_DEP_1)
	v_add_co_u32 v80, s1, v4, v82
	s_wait_alu 0xf1ff
	v_add_co_ci_u32_e64 v81, s1, v5, v83, s1
	v_lshlrev_b64_e32 v[1:2], 2, v[2:3]
	v_add_co_u32 v1, s1, v4, v1
	s_wait_alu 0xf1ff
	s_delay_alu instid0(VALU_DEP_2)
	v_add_co_ci_u32_e64 v2, s1, v5, v2, s1
	s_wait_loadcnt 0x4
	v_lshrrev_b32_e32 v15, 16, v49
	v_lshrrev_b32_e32 v23, 16, v50
	s_wait_loadcnt 0x3
	v_lshrrev_b32_e32 v82, 16, v51
	v_lshrrev_b32_e32 v83, 16, v52
	v_mul_f16_e32 v35, v34, v15
	v_mul_f16_e32 v65, v33, v23
	s_wait_dscnt 0x0
	v_mul_f16_e32 v15, v48, v15
	v_mul_f16_e32 v23, v47, v23
	v_fma_f16 v35, v48, v49, -v35
	v_fma_f16 v47, v47, v50, -v65
	s_delay_alu instid0(VALU_DEP_4) | instskip(NEXT) | instid1(VALU_DEP_4)
	v_fmac_f16_e32 v15, v34, v49
	v_fmac_f16_e32 v23, v33, v50
	v_mul_f16_e32 v33, v31, v82
	v_mul_f16_e32 v34, v32, v83
	;; [unrolled: 1-line block ×4, first 2 shown]
	s_wait_loadcnt 0x2
	v_lshrrev_b32_e32 v50, 16, v53
	v_lshrrev_b32_e32 v65, 16, v54
	s_wait_loadcnt 0x1
	v_lshrrev_b32_e32 v82, 16, v55
	v_lshrrev_b32_e32 v83, 16, v56
	v_add_f16_e32 v84, v35, v47
	v_sub_f16_e32 v85, v15, v23
	v_add_f16_e32 v86, v15, v23
	v_sub_f16_e32 v87, v35, v47
	v_add_f16_e32 v35, v44, v35
	v_add_f16_e32 v15, v30, v15
	v_fma_f16 v33, v45, v51, -v33
	v_fma_f16 v34, v46, v52, -v34
	v_fmac_f16_e32 v48, v31, v51
	v_fmac_f16_e32 v49, v32, v52
	v_mul_f16_e32 v31, v27, v50
	v_mul_f16_e32 v32, v29, v65
	;; [unrolled: 1-line block ×4, first 2 shown]
	s_wait_loadcnt 0x0
	v_lshrrev_b32_e32 v50, 16, v57
	v_lshrrev_b32_e32 v51, 16, v58
	v_mul_f16_e32 v52, v26, v82
	v_mul_f16_e32 v65, v28, v83
	;; [unrolled: 1-line block ×4, first 2 shown]
	v_fma_f16 v44, -0.5, v84, v44
	v_fma_f16 v30, -0.5, v86, v30
	v_add_f16_e32 v35, v35, v47
	v_add_f16_e32 v15, v15, v23
	;; [unrolled: 1-line block ×3, first 2 shown]
	v_sub_f16_e32 v47, v48, v49
	v_add_f16_e32 v84, v48, v49
	v_sub_f16_e32 v86, v33, v34
	v_add_f16_e32 v33, v39, v33
	v_add_f16_e32 v48, v25, v48
	v_fma_f16 v31, v41, v53, -v31
	v_fma_f16 v32, v43, v54, -v32
	v_fmac_f16_e32 v45, v27, v53
	v_fmac_f16_e32 v46, v29, v54
	v_mul_f16_e32 v27, v22, v50
	v_mul_f16_e32 v29, v24, v51
	;; [unrolled: 1-line block ×4, first 2 shown]
	v_fma_f16 v40, v40, v55, -v52
	v_fma_f16 v42, v42, v56, -v65
	v_fmac_f16_e32 v82, v26, v55
	v_fmac_f16_e32 v83, v28, v56
	v_fma_f16 v23, -0.5, v23, v39
	v_add_f16_e32 v33, v33, v34
	v_add_f16_e32 v34, v48, v49
	;; [unrolled: 1-line block ×3, first 2 shown]
	v_sub_f16_e32 v48, v45, v46
	v_add_f16_e32 v49, v45, v46
	v_sub_f16_e32 v50, v31, v32
	v_add_f16_e32 v31, v36, v31
	v_add_f16_e32 v45, v21, v45
	v_fma_f16 v27, v37, v57, -v27
	v_fma_f16 v29, v38, v58, -v29
	v_fmac_f16_e32 v41, v22, v57
	v_fmac_f16_e32 v43, v24, v58
	v_add_f16_e32 v22, v40, v42
	v_add_f16_e32 v37, v82, v83
	v_fma_f16 v36, -0.5, v39, v36
	v_add_f16_e32 v31, v31, v32
	v_add_f16_e32 v32, v45, v46
	;; [unrolled: 1-line block ×4, first 2 shown]
	v_sub_f16_e32 v38, v40, v42
	v_add_f16_e32 v40, v16, v40
	v_add_f16_e32 v51, v20, v82
	v_sub_f16_e32 v24, v82, v83
	v_fma_f16 v16, -0.5, v22, v16
	v_fma_f16 v20, -0.5, v37, v20
	v_pack_b32_f16 v15, v15, v35
	v_fmamk_f16 v35, v47, 0xbaee, v23
	v_fmac_f16_e32 v23, 0x3aee, v47
	v_sub_f16_e32 v45, v41, v43
	v_sub_f16_e32 v47, v27, v29
	v_add_f16_e32 v27, v13, v27
	v_add_f16_e32 v41, v18, v41
	v_fma_f16 v13, -0.5, v39, v13
	v_fma_f16 v18, -0.5, v46, v18
	v_fmamk_f16 v26, v85, 0xbaee, v44
	v_fmamk_f16 v28, v87, 0x3aee, v30
	v_fma_f16 v25, -0.5, v84, v25
	v_fma_f16 v21, -0.5, v49, v21
	v_add_f16_e32 v22, v40, v42
	v_add_f16_e32 v37, v51, v83
	v_fmamk_f16 v39, v24, 0xbaee, v16
	v_fmamk_f16 v40, v38, 0x3aee, v20
	v_fmac_f16_e32 v16, 0x3aee, v24
	v_fmac_f16_e32 v20, 0xbaee, v38
	v_add_f16_e32 v27, v27, v29
	v_add_f16_e32 v29, v41, v43
	v_pack_b32_f16 v24, v32, v31
	v_fmamk_f16 v31, v45, 0xbaee, v13
	v_fmamk_f16 v32, v47, 0x3aee, v18
	v_fmac_f16_e32 v13, 0x3aee, v45
	v_fmac_f16_e32 v18, 0xbaee, v47
	;; [unrolled: 1-line block ×4, first 2 shown]
	v_fmamk_f16 v52, v86, 0x3aee, v25
	v_fmac_f16_e32 v25, 0xbaee, v86
	v_pack_b32_f16 v33, v34, v33
	v_pack_b32_f16 v26, v28, v26
	v_fmamk_f16 v28, v48, 0xbaee, v36
	v_fmamk_f16 v34, v50, 0x3aee, v21
	v_fmac_f16_e32 v36, 0x3aee, v48
	v_fmac_f16_e32 v21, 0xbaee, v50
	v_pack_b32_f16 v22, v37, v22
	v_pack_b32_f16 v16, v20, v16
	;; [unrolled: 1-line block ×11, first 2 shown]
	s_clause 0xe
	global_store_b32 v[59:60], v22, off
	global_store_b32 v[59:60], v16, off offset:576
	global_store_b32 v[59:60], v20, off offset:1152
	global_store_b32 v[61:62], v27, off
	global_store_b32 v[74:75], v13, off
	;; [unrolled: 1-line block ×12, first 2 shown]
	s_and_b32 exec_lo, exec_lo, s0
	s_cbranch_execz .LBB0_34
; %bb.33:
	v_add_nc_u32_e32 v1, -9, v10
	s_delay_alu instid0(VALU_DEP_1) | instskip(NEXT) | instid1(VALU_DEP_1)
	v_cndmask_b32_e32 v1, v1, v11, vcc_lo
	v_lshlrev_b32_e32 v2, 1, v1
	s_delay_alu instid0(VALU_DEP_1) | instskip(NEXT) | instid1(VALU_DEP_1)
	v_lshlrev_b64_e32 v[1:2], 2, v[2:3]
	v_add_co_u32 v1, vcc_lo, s4, v1
	s_wait_alu 0xfffd
	s_delay_alu instid0(VALU_DEP_2) | instskip(SKIP_2) | instid1(VALU_DEP_1)
	v_add_co_ci_u32_e32 v2, vcc_lo, s5, v2, vcc_lo
	global_load_b64 v[6:7], v[1:2], off offset:564
	v_dual_mov_b32 v1, v3 :: v_dual_add_nc_u32 v2, 0x117, v10
	v_lshlrev_b64_e32 v[0:1], 2, v[0:1]
	s_delay_alu instid0(VALU_DEP_2) | instskip(SKIP_1) | instid1(VALU_DEP_3)
	v_lshlrev_b64_e32 v[15:16], 2, v[2:3]
	v_add_nc_u32_e32 v2, 0x1a7, v10
	v_add_co_u32 v0, vcc_lo, v4, v0
	s_wait_alu 0xfffd
	s_delay_alu instid0(VALU_DEP_4) | instskip(NEXT) | instid1(VALU_DEP_3)
	v_add_co_ci_u32_e32 v1, vcc_lo, v5, v1, vcc_lo
	v_lshlrev_b64_e32 v[2:3], 2, v[2:3]
	s_wait_loadcnt 0x0
	v_lshrrev_b32_e32 v11, 16, v6
	v_lshrrev_b32_e32 v13, 16, v7
	s_delay_alu instid0(VALU_DEP_2) | instskip(SKIP_1) | instid1(VALU_DEP_3)
	v_mul_f16_e32 v10, v19, v11
	v_mul_f16_e32 v11, v9, v11
	;; [unrolled: 1-line block ×4, first 2 shown]
	s_delay_alu instid0(VALU_DEP_4) | instskip(NEXT) | instid1(VALU_DEP_4)
	v_fmac_f16_e32 v10, v9, v6
	v_fma_f16 v9, v19, v6, -v11
	s_delay_alu instid0(VALU_DEP_4) | instskip(NEXT) | instid1(VALU_DEP_4)
	v_fmac_f16_e32 v18, v12, v7
	v_fma_f16 v11, v14, v7, -v13
	v_add_co_u32 v6, vcc_lo, v4, v15
	v_add_f16_e32 v13, v8, v10
	s_delay_alu instid0(VALU_DEP_4) | instskip(NEXT) | instid1(VALU_DEP_4)
	v_add_f16_e32 v12, v10, v18
	v_add_f16_e32 v14, v9, v11
	v_sub_f16_e32 v15, v9, v11
	v_add_f16_e32 v9, v17, v9
	v_sub_f16_e32 v10, v10, v18
	v_fmac_f16_e32 v8, -0.5, v12
	v_fmac_f16_e32 v17, -0.5, v14
	v_add_f16_e32 v12, v13, v18
	v_add_f16_e32 v9, v9, v11
	s_wait_alu 0xfffd
	v_add_co_ci_u32_e32 v7, vcc_lo, v5, v16, vcc_lo
	v_fmamk_f16 v11, v15, 0xbaee, v8
	v_fmamk_f16 v13, v10, 0x3aee, v17
	v_fmac_f16_e32 v8, 0x3aee, v15
	v_fmac_f16_e32 v17, 0xbaee, v10
	v_add_co_u32 v2, vcc_lo, v4, v2
	v_pack_b32_f16 v4, v12, v9
	s_wait_alu 0xfffd
	v_add_co_ci_u32_e32 v3, vcc_lo, v5, v3, vcc_lo
	v_pack_b32_f16 v5, v11, v13
	v_pack_b32_f16 v8, v8, v17
	s_clause 0x2
	global_store_b32 v[0:1], v4, off
	global_store_b32 v[6:7], v5, off
	;; [unrolled: 1-line block ×3, first 2 shown]
.LBB0_34:
	s_nop 0
	s_sendmsg sendmsg(MSG_DEALLOC_VGPRS)
	s_endpgm
	.section	.rodata,"a",@progbits
	.p2align	6, 0x0
	.amdhsa_kernel fft_rtc_back_len432_factors_3_16_3_3_wgs_54_tpt_27_halfLds_half_op_CI_CI_unitstride_sbrr_dirReg
		.amdhsa_group_segment_fixed_size 0
		.amdhsa_private_segment_fixed_size 0
		.amdhsa_kernarg_size 104
		.amdhsa_user_sgpr_count 2
		.amdhsa_user_sgpr_dispatch_ptr 0
		.amdhsa_user_sgpr_queue_ptr 0
		.amdhsa_user_sgpr_kernarg_segment_ptr 1
		.amdhsa_user_sgpr_dispatch_id 0
		.amdhsa_user_sgpr_private_segment_size 0
		.amdhsa_wavefront_size32 1
		.amdhsa_uses_dynamic_stack 0
		.amdhsa_enable_private_segment 0
		.amdhsa_system_sgpr_workgroup_id_x 1
		.amdhsa_system_sgpr_workgroup_id_y 0
		.amdhsa_system_sgpr_workgroup_id_z 0
		.amdhsa_system_sgpr_workgroup_info 0
		.amdhsa_system_vgpr_workitem_id 0
		.amdhsa_next_free_vgpr 92
		.amdhsa_next_free_sgpr 39
		.amdhsa_reserve_vcc 1
		.amdhsa_float_round_mode_32 0
		.amdhsa_float_round_mode_16_64 0
		.amdhsa_float_denorm_mode_32 3
		.amdhsa_float_denorm_mode_16_64 3
		.amdhsa_fp16_overflow 0
		.amdhsa_workgroup_processor_mode 1
		.amdhsa_memory_ordered 1
		.amdhsa_forward_progress 0
		.amdhsa_round_robin_scheduling 0
		.amdhsa_exception_fp_ieee_invalid_op 0
		.amdhsa_exception_fp_denorm_src 0
		.amdhsa_exception_fp_ieee_div_zero 0
		.amdhsa_exception_fp_ieee_overflow 0
		.amdhsa_exception_fp_ieee_underflow 0
		.amdhsa_exception_fp_ieee_inexact 0
		.amdhsa_exception_int_div_zero 0
	.end_amdhsa_kernel
	.text
.Lfunc_end0:
	.size	fft_rtc_back_len432_factors_3_16_3_3_wgs_54_tpt_27_halfLds_half_op_CI_CI_unitstride_sbrr_dirReg, .Lfunc_end0-fft_rtc_back_len432_factors_3_16_3_3_wgs_54_tpt_27_halfLds_half_op_CI_CI_unitstride_sbrr_dirReg
                                        ; -- End function
	.section	.AMDGPU.csdata,"",@progbits
; Kernel info:
; codeLenInByte = 9712
; NumSgprs: 41
; NumVgprs: 92
; ScratchSize: 0
; MemoryBound: 0
; FloatMode: 240
; IeeeMode: 1
; LDSByteSize: 0 bytes/workgroup (compile time only)
; SGPRBlocks: 5
; VGPRBlocks: 11
; NumSGPRsForWavesPerEU: 41
; NumVGPRsForWavesPerEU: 92
; Occupancy: 16
; WaveLimiterHint : 1
; COMPUTE_PGM_RSRC2:SCRATCH_EN: 0
; COMPUTE_PGM_RSRC2:USER_SGPR: 2
; COMPUTE_PGM_RSRC2:TRAP_HANDLER: 0
; COMPUTE_PGM_RSRC2:TGID_X_EN: 1
; COMPUTE_PGM_RSRC2:TGID_Y_EN: 0
; COMPUTE_PGM_RSRC2:TGID_Z_EN: 0
; COMPUTE_PGM_RSRC2:TIDIG_COMP_CNT: 0
	.text
	.p2alignl 7, 3214868480
	.fill 96, 4, 3214868480
	.type	__hip_cuid_f3d6500db35ed093,@object ; @__hip_cuid_f3d6500db35ed093
	.section	.bss,"aw",@nobits
	.globl	__hip_cuid_f3d6500db35ed093
__hip_cuid_f3d6500db35ed093:
	.byte	0                               ; 0x0
	.size	__hip_cuid_f3d6500db35ed093, 1

	.ident	"AMD clang version 19.0.0git (https://github.com/RadeonOpenCompute/llvm-project roc-6.4.0 25133 c7fe45cf4b819c5991fe208aaa96edf142730f1d)"
	.section	".note.GNU-stack","",@progbits
	.addrsig
	.addrsig_sym __hip_cuid_f3d6500db35ed093
	.amdgpu_metadata
---
amdhsa.kernels:
  - .args:
      - .actual_access:  read_only
        .address_space:  global
        .offset:         0
        .size:           8
        .value_kind:     global_buffer
      - .offset:         8
        .size:           8
        .value_kind:     by_value
      - .actual_access:  read_only
        .address_space:  global
        .offset:         16
        .size:           8
        .value_kind:     global_buffer
      - .actual_access:  read_only
        .address_space:  global
        .offset:         24
        .size:           8
        .value_kind:     global_buffer
      - .actual_access:  read_only
        .address_space:  global
        .offset:         32
        .size:           8
        .value_kind:     global_buffer
      - .offset:         40
        .size:           8
        .value_kind:     by_value
      - .actual_access:  read_only
        .address_space:  global
        .offset:         48
        .size:           8
        .value_kind:     global_buffer
      - .actual_access:  read_only
        .address_space:  global
        .offset:         56
        .size:           8
        .value_kind:     global_buffer
      - .offset:         64
        .size:           4
        .value_kind:     by_value
      - .actual_access:  read_only
        .address_space:  global
        .offset:         72
        .size:           8
        .value_kind:     global_buffer
      - .actual_access:  read_only
        .address_space:  global
        .offset:         80
        .size:           8
        .value_kind:     global_buffer
      - .actual_access:  read_only
        .address_space:  global
        .offset:         88
        .size:           8
        .value_kind:     global_buffer
      - .actual_access:  write_only
        .address_space:  global
        .offset:         96
        .size:           8
        .value_kind:     global_buffer
    .group_segment_fixed_size: 0
    .kernarg_segment_align: 8
    .kernarg_segment_size: 104
    .language:       OpenCL C
    .language_version:
      - 2
      - 0
    .max_flat_workgroup_size: 54
    .name:           fft_rtc_back_len432_factors_3_16_3_3_wgs_54_tpt_27_halfLds_half_op_CI_CI_unitstride_sbrr_dirReg
    .private_segment_fixed_size: 0
    .sgpr_count:     41
    .sgpr_spill_count: 0
    .symbol:         fft_rtc_back_len432_factors_3_16_3_3_wgs_54_tpt_27_halfLds_half_op_CI_CI_unitstride_sbrr_dirReg.kd
    .uniform_work_group_size: 1
    .uses_dynamic_stack: false
    .vgpr_count:     92
    .vgpr_spill_count: 0
    .wavefront_size: 32
    .workgroup_processor_mode: 1
amdhsa.target:   amdgcn-amd-amdhsa--gfx1201
amdhsa.version:
  - 1
  - 2
...

	.end_amdgpu_metadata
